;; amdgpu-corpus repo=ROCm/rocFFT kind=compiled arch=gfx1201 opt=O3
	.text
	.amdgcn_target "amdgcn-amd-amdhsa--gfx1201"
	.amdhsa_code_object_version 6
	.protected	bluestein_single_fwd_len50_dim1_dp_op_CI_CI ; -- Begin function bluestein_single_fwd_len50_dim1_dp_op_CI_CI
	.globl	bluestein_single_fwd_len50_dim1_dp_op_CI_CI
	.p2align	8
	.type	bluestein_single_fwd_len50_dim1_dp_op_CI_CI,@function
bluestein_single_fwd_len50_dim1_dp_op_CI_CI: ; @bluestein_single_fwd_len50_dim1_dp_op_CI_CI
; %bb.0:
	s_load_b128 s[8:11], s[0:1], 0x28
	v_mul_u32_u24_e32 v1, 0x199a, v0
	s_mov_b32 s2, exec_lo
	s_delay_alu instid0(VALU_DEP_1) | instskip(NEXT) | instid1(VALU_DEP_1)
	v_lshrrev_b32_e32 v1, 16, v1
	v_mad_co_u64_u32 v[56:57], null, ttmp9, 25, v[1:2]
	v_mov_b32_e32 v57, 0
	s_wait_kmcnt 0x0
	s_delay_alu instid0(VALU_DEP_1)
	v_cmpx_gt_u64_e64 s[8:9], v[56:57]
	s_cbranch_execz .LBB0_15
; %bb.1:
	v_mul_hi_u32 v2, 0x51eb851f, v56
	v_mul_lo_u16 v1, v1, 10
	s_clause 0x1
	s_load_b64 s[12:13], s[0:1], 0x0
	s_load_b64 s[8:9], s[0:1], 0x38
	s_delay_alu instid0(VALU_DEP_1) | instskip(NEXT) | instid1(VALU_DEP_3)
	v_sub_nc_u16 v0, v0, v1
	v_lshrrev_b32_e32 v2, 3, v2
	s_delay_alu instid0(VALU_DEP_2) | instskip(SKIP_1) | instid1(VALU_DEP_3)
	v_and_b32_e32 v62, 0xffff, v0
	v_cmp_gt_u16_e32 vcc_lo, 5, v0
	v_mul_lo_u32 v2, v2, 25
	s_delay_alu instid0(VALU_DEP_3) | instskip(SKIP_1) | instid1(VALU_DEP_3)
	v_lshlrev_b32_e32 v64, 4, v62
	v_or_b32_e32 v61, 40, v62
	v_sub_nc_u32_e32 v1, v56, v2
	s_delay_alu instid0(VALU_DEP_1) | instskip(NEXT) | instid1(VALU_DEP_1)
	v_mul_u32_u24_e32 v63, 50, v1
	v_lshlrev_b32_e32 v65, 4, v63
	s_and_saveexec_b32 s3, vcc_lo
	s_cbranch_execz .LBB0_3
; %bb.2:
	s_load_b64 s[4:5], s[0:1], 0x18
	s_wait_kmcnt 0x0
	s_load_b128 s[4:7], s[4:5], 0x0
	s_wait_kmcnt 0x0
	v_mad_co_u64_u32 v[0:1], null, s6, v56, 0
	v_mad_co_u64_u32 v[2:3], null, s4, v62, 0
	s_delay_alu instid0(VALU_DEP_1) | instskip(SKIP_1) | instid1(VALU_DEP_1)
	v_mad_co_u64_u32 v[4:5], null, s7, v56, v[1:2]
	s_mul_u64 s[6:7], s[4:5], 0x50
	v_mad_co_u64_u32 v[5:6], null, s5, v62, v[3:4]
	v_mov_b32_e32 v1, v4
	s_delay_alu instid0(VALU_DEP_1) | instskip(NEXT) | instid1(VALU_DEP_3)
	v_lshlrev_b64_e32 v[0:1], 4, v[0:1]
	v_mov_b32_e32 v3, v5
	v_mad_co_u64_u32 v[4:5], null, s4, v61, 0
	s_delay_alu instid0(VALU_DEP_2) | instskip(NEXT) | instid1(VALU_DEP_4)
	v_lshlrev_b64_e32 v[2:3], 4, v[2:3]
	v_add_co_u32 v16, s2, s10, v0
	s_delay_alu instid0(VALU_DEP_1) | instskip(NEXT) | instid1(VALU_DEP_4)
	v_add_co_ci_u32_e64 v17, s2, s11, v1, s2
	v_mov_b32_e32 v0, v5
	s_delay_alu instid0(VALU_DEP_3) | instskip(SKIP_1) | instid1(VALU_DEP_3)
	v_add_co_u32 v12, s2, v16, v2
	s_wait_alu 0xf1ff
	v_add_co_ci_u32_e64 v13, s2, v17, v3, s2
	s_delay_alu instid0(VALU_DEP_3) | instskip(SKIP_4) | instid1(VALU_DEP_2)
	v_mad_co_u64_u32 v[0:1], null, s5, v61, v[0:1]
	s_wait_alu 0xfffe
	v_add_co_u32 v28, s2, v12, s6
	s_wait_alu 0xf1ff
	v_add_co_ci_u32_e64 v29, s2, s7, v13, s2
	v_add_co_u32 v32, s2, v28, s6
	s_wait_alu 0xf1ff
	s_delay_alu instid0(VALU_DEP_2) | instskip(SKIP_1) | instid1(VALU_DEP_3)
	v_add_co_ci_u32_e64 v33, s2, s7, v29, s2
	v_mov_b32_e32 v5, v0
	v_add_co_u32 v36, s2, v32, s6
	s_wait_alu 0xf1ff
	s_delay_alu instid0(VALU_DEP_3) | instskip(NEXT) | instid1(VALU_DEP_3)
	v_add_co_ci_u32_e64 v37, s2, s7, v33, s2
	v_lshlrev_b64_e32 v[14:15], 4, v[4:5]
	s_delay_alu instid0(VALU_DEP_3) | instskip(SKIP_1) | instid1(VALU_DEP_3)
	v_add_co_u32 v48, s2, v36, s6
	s_wait_alu 0xf1ff
	v_add_co_ci_u32_e64 v49, s2, s7, v37, s2
	global_load_b128 v[0:3], v64, s[12:13] offset:640
	v_add_co_u32 v52, s2, v48, s6
	s_wait_alu 0xf1ff
	v_add_co_ci_u32_e64 v53, s2, s7, v49, s2
	s_clause 0x1
	global_load_b128 v[4:7], v64, s[12:13]
	global_load_b128 v[8:11], v64, s[12:13] offset:80
	v_add_co_u32 v57, s2, v52, s6
	s_wait_alu 0xf1ff
	v_add_co_ci_u32_e64 v58, s2, s7, v53, s2
	s_delay_alu instid0(VALU_DEP_2) | instskip(SKIP_1) | instid1(VALU_DEP_2)
	v_add_co_u32 v74, s2, v57, s6
	s_wait_alu 0xf1ff
	v_add_co_ci_u32_e64 v75, s2, s7, v58, s2
	v_add_co_u32 v24, s2, v16, v14
	s_wait_alu 0xf1ff
	v_add_co_ci_u32_e64 v25, s2, v17, v15, s2
	s_delay_alu instid0(VALU_DEP_3)
	v_mad_co_u64_u32 v[82:83], null, 0xa0, s4, v[74:75]
	global_load_b128 v[12:15], v[12:13], off
	s_clause 0x1
	global_load_b128 v[16:19], v64, s[12:13] offset:160
	global_load_b128 v[20:23], v64, s[12:13] offset:240
	s_clause 0x1
	global_load_b128 v[24:27], v[24:25], off
	global_load_b128 v[28:31], v[28:29], off
	v_mov_b32_e32 v34, v83
	s_delay_alu instid0(VALU_DEP_1)
	v_mad_co_u64_u32 v[66:67], null, 0xa0, s5, v[34:35]
	s_clause 0x1
	global_load_b128 v[32:35], v[32:33], off
	global_load_b128 v[36:39], v[36:37], off
	s_clause 0x1
	global_load_b128 v[40:43], v64, s[12:13] offset:320
	global_load_b128 v[44:47], v64, s[12:13] offset:400
	global_load_b128 v[48:51], v[48:49], off
	global_load_b128 v[52:55], v[52:53], off
	;; [unrolled: 1-line block ×3, first 2 shown]
	v_mov_b32_e32 v83, v66
	s_clause 0x1
	global_load_b128 v[66:69], v64, s[12:13] offset:480
	global_load_b128 v[70:73], v64, s[12:13] offset:560
	global_load_b128 v[74:77], v[74:75], off
	global_load_b128 v[78:81], v64, s[12:13] offset:720
	global_load_b128 v[82:85], v[82:83], off
	s_wait_loadcnt 0x10
	v_mul_f64_e32 v[86:87], v[14:15], v[6:7]
	v_mul_f64_e32 v[6:7], v[12:13], v[6:7]
	s_wait_loadcnt 0xc
	v_mul_f64_e32 v[92:93], v[30:31], v[10:11]
	v_mul_f64_e32 v[94:95], v[28:29], v[10:11]
	;; [unrolled: 1-line block ×4, first 2 shown]
	s_wait_loadcnt 0xb
	v_mul_f64_e32 v[96:97], v[34:35], v[18:19]
	v_mul_f64_e32 v[18:19], v[32:33], v[18:19]
	s_wait_loadcnt 0xa
	v_mul_f64_e32 v[98:99], v[38:39], v[22:23]
	v_mul_f64_e32 v[22:23], v[36:37], v[22:23]
	;; [unrolled: 3-line block ×7, first 2 shown]
	v_fma_f64 v[2:3], v[12:13], v[4:5], v[86:87]
	v_fma_f64 v[4:5], v[14:15], v[4:5], -v[6:7]
	v_fma_f64 v[6:7], v[28:29], v[8:9], v[92:93]
	v_fma_f64 v[8:9], v[30:31], v[8:9], -v[94:95]
	;; [unrolled: 2-line block ×3, first 2 shown]
	v_lshl_add_u32 v0, v62, 4, v65
	v_fma_f64 v[14:15], v[32:33], v[16:17], v[96:97]
	v_fma_f64 v[16:17], v[34:35], v[16:17], -v[18:19]
	v_fma_f64 v[18:19], v[36:37], v[20:21], v[98:99]
	v_fma_f64 v[20:21], v[38:39], v[20:21], -v[22:23]
	;; [unrolled: 2-line block ×4, first 2 shown]
	v_add_nc_u32_e32 v1, v65, v64
	v_fma_f64 v[30:31], v[57:58], v[66:67], v[104:105]
	v_fma_f64 v[32:33], v[59:60], v[66:67], -v[68:69]
	v_fma_f64 v[34:35], v[74:75], v[70:71], v[106:107]
	v_fma_f64 v[36:37], v[76:77], v[70:71], -v[72:73]
	;; [unrolled: 2-line block ×3, first 2 shown]
	ds_store_b128 v0, v[2:5]
	ds_store_b128 v1, v[6:9] offset:80
	ds_store_b128 v1, v[14:17] offset:160
	;; [unrolled: 1-line block ×9, first 2 shown]
.LBB0_3:
	s_or_b32 exec_lo, exec_lo, s3
	s_clause 0x1
	s_load_b64 s[2:3], s[0:1], 0x20
	s_load_b64 s[4:5], s[0:1], 0x8
	global_wb scope:SCOPE_SE
	s_wait_dscnt 0x0
	s_wait_kmcnt 0x0
	s_barrier_signal -1
	s_barrier_wait -1
	global_inv scope:SCOPE_SE
                                        ; implicit-def: $vgpr10_vgpr11
                                        ; implicit-def: $vgpr2_vgpr3
                                        ; implicit-def: $vgpr4_vgpr5
                                        ; implicit-def: $vgpr36_vgpr37
                                        ; implicit-def: $vgpr16_vgpr17
                                        ; implicit-def: $vgpr28_vgpr29
                                        ; implicit-def: $vgpr20_vgpr21
                                        ; implicit-def: $vgpr32_vgpr33
                                        ; implicit-def: $vgpr12_vgpr13
                                        ; implicit-def: $vgpr24_vgpr25
	s_and_saveexec_b32 s0, vcc_lo
	s_cbranch_execz .LBB0_5
; %bb.4:
	v_lshl_add_u32 v24, v63, 4, v64
	ds_load_b128 v[0:3], v24
	ds_load_b128 v[8:11], v24 offset:80
	ds_load_b128 v[4:7], v24 offset:160
	;; [unrolled: 1-line block ×9, first 2 shown]
.LBB0_5:
	s_wait_alu 0xfffe
	s_or_b32 exec_lo, exec_lo, s0
	s_wait_dscnt 0x2
	v_add_f64_e32 v[40:41], v[28:29], v[32:33]
	s_wait_dscnt 0x0
	v_add_f64_e32 v[42:43], v[38:39], v[26:27]
	v_add_f64_e32 v[44:45], v[36:37], v[24:25]
	;; [unrolled: 1-line block ×3, first 2 shown]
	v_add_f64_e64 v[48:49], v[38:39], -v[26:27]
	v_add_f64_e64 v[50:51], v[30:31], -v[34:35]
	;; [unrolled: 1-line block ×4, first 2 shown]
	s_mov_b32 s6, 0x134454ff
	s_mov_b32 s7, 0x3fee6f0e
	;; [unrolled: 1-line block ×3, first 2 shown]
	s_wait_alu 0xfffe
	s_mov_b32 s10, s6
	v_add_f64_e32 v[57:58], v[16:17], v[20:21]
	v_add_f64_e32 v[59:60], v[4:5], v[12:13]
	;; [unrolled: 1-line block ×4, first 2 shown]
	v_add_f64_e64 v[70:71], v[36:37], -v[28:29]
	v_add_f64_e64 v[72:73], v[24:25], -v[32:33]
	;; [unrolled: 1-line block ×8, first 2 shown]
	s_mov_b32 s14, 0x4755a5e
	s_mov_b32 s15, 0x3fe2cf23
	;; [unrolled: 1-line block ×4, first 2 shown]
	v_add_f64_e32 v[94:95], v[0:1], v[4:5]
	v_add_f64_e64 v[96:97], v[6:7], -v[14:15]
	v_add_f64_e64 v[98:99], v[18:19], -v[22:23]
	v_add_f64_e32 v[100:101], v[2:3], v[6:7]
	v_add_f64_e64 v[102:103], v[4:5], -v[12:13]
	v_add_f64_e64 v[104:105], v[16:17], -v[20:21]
	s_mov_b32 s18, 0x372fe950
	s_mov_b32 s19, 0x3fd3c6ef
	;; [unrolled: 1-line block ×4, first 2 shown]
	v_fma_f64 v[40:41], v[40:41], -0.5, v[8:9]
	v_fma_f64 v[42:43], v[42:43], -0.5, v[10:11]
	;; [unrolled: 1-line block ×4, first 2 shown]
	v_add_f64_e32 v[8:9], v[8:9], v[36:37]
	v_add_f64_e32 v[10:11], v[10:11], v[38:39]
	global_wb scope:SCOPE_SE
	s_barrier_signal -1
	s_barrier_wait -1
	global_inv scope:SCOPE_SE
	v_fma_f64 v[36:37], v[57:58], -0.5, v[0:1]
	v_fma_f64 v[0:1], v[59:60], -0.5, v[0:1]
	;; [unrolled: 1-line block ×4, first 2 shown]
	v_add_f64_e32 v[57:58], v[70:71], v[72:73]
	v_add_f64_e32 v[59:60], v[74:75], v[76:77]
	v_add_f64_e64 v[74:75], v[12:13], -v[20:21]
	v_add_f64_e64 v[76:77], v[20:21], -v[12:13]
	v_add_f64_e32 v[66:67], v[80:81], v[82:83]
	v_add_f64_e64 v[80:81], v[14:15], -v[22:23]
	v_add_f64_e64 v[82:83], v[22:23], -v[14:15]
	v_fma_f64 v[84:85], v[48:49], s[6:7], v[40:41]
	v_fma_f64 v[86:87], v[52:53], s[6:7], v[42:43]
	;; [unrolled: 1-line block ×3, first 2 shown]
	s_wait_alu 0xfffe
	v_fma_f64 v[40:41], v[48:49], s[10:11], v[40:41]
	v_fma_f64 v[44:45], v[50:51], s[10:11], v[44:45]
	;; [unrolled: 1-line block ×5, first 2 shown]
	v_add_f64_e32 v[8:9], v[8:9], v[28:29]
	v_add_f64_e32 v[10:11], v[10:11], v[30:31]
	v_fma_f64 v[28:29], v[96:97], s[6:7], v[36:37]
	v_fma_f64 v[30:31], v[96:97], s[10:11], v[36:37]
	;; [unrolled: 1-line block ×8, first 2 shown]
	v_add_f64_e32 v[50:51], v[78:79], v[90:91]
	v_fma_f64 v[44:45], v[48:49], s[14:15], v[44:45]
	v_fma_f64 v[42:43], v[54:55], s[14:15], v[42:43]
	;; [unrolled: 1-line block ×3, first 2 shown]
	v_add_f64_e64 v[54:55], v[4:5], -v[16:17]
	v_add_f64_e64 v[4:5], v[16:17], -v[4:5]
	;; [unrolled: 1-line block ×4, first 2 shown]
	v_add_f64_e32 v[16:17], v[94:95], v[16:17]
	v_add_f64_e32 v[18:19], v[100:101], v[18:19]
	v_fma_f64 v[84:85], v[102:103], s[10:11], v[38:39]
	v_fma_f64 v[38:39], v[102:103], s[6:7], v[38:39]
	;; [unrolled: 1-line block ×5, first 2 shown]
	v_add_f64_e32 v[8:9], v[8:9], v[32:33]
	v_add_f64_e32 v[10:11], v[10:11], v[34:35]
	v_fma_f64 v[52:53], v[57:58], s[18:19], v[68:69]
	v_fma_f64 v[68:69], v[66:67], s[18:19], v[70:71]
	;; [unrolled: 1-line block ×7, first 2 shown]
	v_add_f64_e32 v[44:45], v[54:55], v[74:75]
	v_add_f64_e32 v[54:55], v[4:5], v[76:77]
	;; [unrolled: 1-line block ×6, first 2 shown]
	v_fma_f64 v[16:17], v[98:99], s[14:15], v[28:29]
	v_fma_f64 v[18:19], v[98:99], s[16:17], v[30:31]
	;; [unrolled: 1-line block ×9, first 2 shown]
	v_add_f64_e32 v[42:43], v[10:11], v[26:27]
	v_mul_f64_e32 v[36:37], s[0:1], v[52:53]
	v_mul_f64_e32 v[38:39], s[6:7], v[68:69]
	;; [unrolled: 1-line block ×8, first 2 shown]
	v_add_f64_e32 v[0:1], v[4:5], v[12:13]
	v_add_f64_e32 v[40:41], v[6:7], v[14:15]
	;; [unrolled: 1-line block ×3, first 2 shown]
	v_fma_f64 v[6:7], v[44:45], s[18:19], v[16:17]
	v_fma_f64 v[2:3], v[44:45], s[18:19], v[18:19]
	;; [unrolled: 1-line block ×8, first 2 shown]
	v_mul_lo_u16 v66, v62, 10
	v_fma_f64 v[12:13], v[76:77], s[14:15], v[36:37]
	v_fma_f64 v[14:15], v[57:58], s[18:19], v[38:39]
	v_fma_f64 v[36:37], v[59:60], s[6:7], -v[78:79]
	v_fma_f64 v[38:39], v[48:49], s[14:15], -v[80:81]
	v_fma_f64 v[48:49], v[76:77], s[0:1], v[82:83]
	v_fma_f64 v[54:55], v[68:69], s[18:19], v[84:85]
	v_fma_f64 v[57:58], v[70:71], s[10:11], -v[86:87]
	v_fma_f64 v[59:60], v[72:73], s[16:17], -v[88:89]
	v_add_f64_e64 v[26:27], v[40:41], -v[42:43]
	v_add_f64_e64 v[24:25], v[0:1], -v[4:5]
	;; [unrolled: 1-line block ×10, first 2 shown]
	s_and_saveexec_b32 s0, vcc_lo
	s_cbranch_execz .LBB0_7
; %bb.6:
	v_add_f64_e32 v[42:43], v[40:41], v[42:43]
	v_add_f64_e32 v[40:41], v[0:1], v[4:5]
	;; [unrolled: 1-line block ×10, first 2 shown]
	v_and_b32_e32 v0, 0xffff, v66
	s_delay_alu instid0(VALU_DEP_1)
	v_add_lshl_u32 v0, v63, v0, 4
	ds_store_b128 v0, v[20:23] offset:96
	ds_store_b128 v0, v[32:35] offset:112
	ds_store_b128 v0, v[40:43]
	ds_store_b128 v0, v[67:70] offset:16
	ds_store_b128 v0, v[44:47] offset:32
	ds_store_b128 v0, v[57:60] offset:48
	ds_store_b128 v0, v[50:53] offset:64
	ds_store_b128 v0, v[24:27] offset:80
	ds_store_b128 v0, v[16:19] offset:128
	ds_store_b128 v0, v[28:31] offset:144
.LBB0_7:
	s_wait_alu 0xfffe
	s_or_b32 exec_lo, exec_lo, s0
	v_lshlrev_b32_e32 v0, 6, v62
	s_load_b128 s[0:3], s[2:3], 0x0
	global_wb scope:SCOPE_SE
	s_wait_dscnt 0x0
	s_wait_kmcnt 0x0
	s_barrier_signal -1
	s_barrier_wait -1
	global_inv scope:SCOPE_SE
	s_clause 0x3
	global_load_b128 v[12:15], v0, s[4:5]
	global_load_b128 v[8:11], v0, s[4:5] offset:16
	global_load_b128 v[4:7], v0, s[4:5] offset:32
	;; [unrolled: 1-line block ×3, first 2 shown]
	v_add_lshl_u32 v58, v63, v62, 4
	ds_load_b128 v[36:39], v58 offset:160
	ds_load_b128 v[40:43], v58 offset:320
	;; [unrolled: 1-line block ×4, first 2 shown]
	v_lshl_add_u32 v57, v62, 4, v65
	s_wait_loadcnt_dscnt 0x303
	v_mul_f64_e32 v[52:53], v[38:39], v[14:15]
	s_wait_loadcnt_dscnt 0x202
	v_mul_f64_e32 v[54:55], v[42:43], v[10:11]
	;; [unrolled: 2-line block ×3, first 2 shown]
	v_mul_f64_e32 v[67:68], v[36:37], v[14:15]
	s_wait_loadcnt_dscnt 0x0
	v_mul_f64_e32 v[69:70], v[50:51], v[2:3]
	v_mul_f64_e32 v[71:72], v[40:41], v[10:11]
	;; [unrolled: 1-line block ×4, first 2 shown]
	v_fma_f64 v[52:53], v[36:37], v[12:13], -v[52:53]
	v_fma_f64 v[40:41], v[40:41], v[8:9], -v[54:55]
	;; [unrolled: 1-line block ×3, first 2 shown]
	v_fma_f64 v[54:55], v[38:39], v[12:13], v[67:68]
	v_fma_f64 v[48:49], v[48:49], v[0:1], -v[69:70]
	v_fma_f64 v[42:43], v[42:43], v[8:9], v[71:72]
	v_fma_f64 v[46:47], v[46:47], v[4:5], v[73:74]
	;; [unrolled: 1-line block ×3, first 2 shown]
	ds_load_b128 v[36:39], v58
	s_wait_dscnt 0x0
	v_add_f64_e32 v[73:74], v[36:37], v[52:53]
	v_add_f64_e32 v[59:60], v[40:41], v[44:45]
	;; [unrolled: 1-line block ×4, first 2 shown]
	v_add_f64_e64 v[81:82], v[52:53], -v[48:49]
	v_add_f64_e32 v[69:70], v[42:43], v[46:47]
	v_add_f64_e32 v[71:72], v[54:55], v[50:51]
	v_add_f64_e64 v[75:76], v[54:55], -v[50:51]
	v_add_f64_e64 v[77:78], v[42:43], -v[46:47]
	;; [unrolled: 1-line block ×8, first 2 shown]
	v_fma_f64 v[59:60], v[59:60], -0.5, v[36:37]
	v_add_f64_e32 v[42:43], v[79:80], v[42:43]
	v_fma_f64 v[36:37], v[67:68], -0.5, v[36:37]
	v_add_f64_e64 v[67:68], v[40:41], -v[44:45]
	v_fma_f64 v[69:70], v[69:70], -0.5, v[38:39]
	v_fma_f64 v[38:39], v[71:72], -0.5, v[38:39]
	v_add_f64_e64 v[71:72], v[52:53], -v[40:41]
	v_add_f64_e64 v[52:53], v[40:41], -v[52:53]
	v_add_f64_e32 v[40:41], v[73:74], v[40:41]
	v_add_f64_e32 v[54:55], v[54:55], v[91:92]
	v_fma_f64 v[73:74], v[75:76], s[6:7], v[59:60]
	v_fma_f64 v[59:60], v[75:76], s[10:11], v[59:60]
	;; [unrolled: 1-line block ×8, first 2 shown]
	v_add_f64_e32 v[71:72], v[71:72], v[83:84]
	v_add_f64_e32 v[52:53], v[52:53], v[85:86]
	;; [unrolled: 1-line block ×5, first 2 shown]
	v_fma_f64 v[44:45], v[77:78], s[14:15], v[73:74]
	v_fma_f64 v[46:47], v[77:78], s[16:17], v[59:60]
	;; [unrolled: 1-line block ×8, first 2 shown]
	v_add_f64_e32 v[36:37], v[40:41], v[48:49]
	v_add_f64_e32 v[38:39], v[42:43], v[50:51]
	v_fma_f64 v[44:45], v[71:72], s[18:19], v[44:45]
	v_fma_f64 v[48:49], v[71:72], s[18:19], v[46:47]
	;; [unrolled: 1-line block ×8, first 2 shown]
	ds_store_b128 v57, v[36:39]
	ds_store_b128 v57, v[44:47] offset:160
	ds_store_b128 v57, v[40:43] offset:320
	;; [unrolled: 1-line block ×4, first 2 shown]
	global_wb scope:SCOPE_SE
	s_wait_dscnt 0x0
	s_barrier_signal -1
	s_barrier_wait -1
	global_inv scope:SCOPE_SE
	s_and_saveexec_b32 s6, vcc_lo
	s_cbranch_execz .LBB0_9
; %bb.8:
	s_add_nc_u64 s[4:5], s[12:13], 0x320
	s_clause 0x9
	global_load_b128 v[67:70], v64, s[12:13] offset:800
	global_load_b128 v[71:74], v64, s[4:5] offset:80
	;; [unrolled: 1-line block ×10, first 2 shown]
	ds_load_b128 v[107:110], v57
	ds_load_b128 v[111:114], v57 offset:80
	ds_load_b128 v[115:118], v57 offset:160
	;; [unrolled: 1-line block ×9, first 2 shown]
	s_wait_loadcnt_dscnt 0x909
	v_mul_f64_e32 v[59:60], v[109:110], v[69:70]
	v_mul_f64_e32 v[69:70], v[107:108], v[69:70]
	s_wait_loadcnt_dscnt 0x808
	v_mul_f64_e32 v[147:148], v[113:114], v[73:74]
	v_mul_f64_e32 v[73:74], v[111:112], v[73:74]
	;; [unrolled: 3-line block ×10, first 2 shown]
	v_fma_f64 v[105:106], v[107:108], v[67:68], -v[59:60]
	v_fma_f64 v[107:108], v[109:110], v[67:68], v[69:70]
	v_fma_f64 v[67:68], v[111:112], v[71:72], -v[147:148]
	v_fma_f64 v[69:70], v[113:114], v[71:72], v[73:74]
	;; [unrolled: 2-line block ×10, first 2 shown]
	ds_store_b128 v57, v[105:108]
	ds_store_b128 v57, v[67:70] offset:80
	ds_store_b128 v57, v[71:74] offset:160
	;; [unrolled: 1-line block ×9, first 2 shown]
.LBB0_9:
	s_wait_alu 0xfffe
	s_or_b32 exec_lo, exec_lo, s6
	global_wb scope:SCOPE_SE
	s_wait_dscnt 0x0
	s_barrier_signal -1
	s_barrier_wait -1
	global_inv scope:SCOPE_SE
	s_and_saveexec_b32 s4, vcc_lo
	s_cbranch_execz .LBB0_11
; %bb.10:
	ds_load_b128 v[36:39], v57
	ds_load_b128 v[44:47], v57 offset:80
	ds_load_b128 v[40:43], v57 offset:160
	;; [unrolled: 1-line block ×9, first 2 shown]
.LBB0_11:
	s_wait_alu 0xfffe
	s_or_b32 exec_lo, exec_lo, s4
	global_wb scope:SCOPE_SE
	s_wait_dscnt 0x0
	s_barrier_signal -1
	s_barrier_wait -1
	global_inv scope:SCOPE_SE
	s_and_saveexec_b32 s16, vcc_lo
	s_cbranch_execz .LBB0_13
; %bb.12:
	v_add_f64_e32 v[59:60], v[26:27], v[34:35]
	v_add_f64_e32 v[67:68], v[54:55], v[30:31]
	v_add_f64_e32 v[69:70], v[24:25], v[32:33]
	v_add_f64_e64 v[71:72], v[52:53], -v[28:29]
	v_add_f64_e32 v[73:74], v[52:53], v[28:29]
	v_add_f64_e64 v[75:76], v[24:25], -v[32:33]
	v_add_f64_e64 v[77:78], v[54:55], -v[30:31]
	s_mov_b32 s6, 0x134454ff
	s_mov_b32 s7, 0xbfee6f0e
	;; [unrolled: 1-line block ×3, first 2 shown]
	s_wait_alu 0xfffe
	s_mov_b32 s4, s6
	v_add_f64_e32 v[79:80], v[50:51], v[22:23]
	v_add_f64_e64 v[81:82], v[54:55], -v[26:27]
	v_add_f64_e64 v[83:84], v[30:31], -v[34:35]
	v_add_f64_e32 v[85:86], v[42:43], v[18:19]
	v_add_f64_e64 v[87:88], v[26:27], -v[54:55]
	v_add_f64_e64 v[89:90], v[34:35], -v[30:31]
	v_add_f64_e32 v[91:92], v[48:49], v[20:21]
	v_add_f64_e64 v[93:94], v[26:27], -v[34:35]
	v_add_f64_e32 v[99:100], v[40:41], v[16:17]
	v_add_f64_e64 v[101:102], v[52:53], -v[24:25]
	v_add_f64_e64 v[103:104], v[28:29], -v[32:33]
	s_mov_b32 s14, 0x4755a5e
	s_mov_b32 s15, 0xbfe2cf23
	;; [unrolled: 1-line block ×3, first 2 shown]
	s_wait_alu 0xfffe
	s_mov_b32 s10, s14
	v_add_f64_e32 v[115:116], v[38:39], v[42:43]
	v_add_f64_e32 v[119:120], v[36:37], v[40:41]
	v_add_f64_e64 v[107:108], v[40:41], -v[16:17]
	v_add_f64_e64 v[111:112], v[24:25], -v[52:53]
	;; [unrolled: 1-line block ×5, first 2 shown]
	s_mov_b32 s20, 0x9b97f4a8
	s_mov_b32 s23, 0xbfd3c6ef
	;; [unrolled: 1-line block ×4, first 2 shown]
	v_fma_f64 v[59:60], v[59:60], -0.5, v[46:47]
	v_fma_f64 v[67:68], v[67:68], -0.5, v[46:47]
	;; [unrolled: 1-line block ×3, first 2 shown]
	v_add_f64_e32 v[46:47], v[46:47], v[54:55]
	v_fma_f64 v[73:74], v[73:74], -0.5, v[44:45]
	v_add_f64_e32 v[44:45], v[44:45], v[52:53]
	v_add_f64_e64 v[54:55], v[42:43], -v[18:19]
	v_fma_f64 v[52:53], v[79:80], -0.5, v[38:39]
	v_add_f64_e32 v[79:80], v[81:82], v[83:84]
	v_fma_f64 v[38:39], v[85:86], -0.5, v[38:39]
	v_add_f64_e32 v[81:82], v[87:88], v[89:90]
	v_fma_f64 v[83:84], v[91:92], -0.5, v[36:37]
	v_fma_f64 v[36:37], v[99:100], -0.5, v[36:37]
	v_add_f64_e64 v[99:100], v[40:41], -v[48:49]
	v_add_f64_e64 v[40:41], v[48:49], -v[40:41]
	v_fma_f64 v[95:96], v[71:72], s[6:7], v[59:60]
	v_fma_f64 v[97:98], v[75:76], s[4:5], v[67:68]
	;; [unrolled: 1-line block ×8, first 2 shown]
	v_add_f64_e32 v[26:27], v[46:47], v[26:27]
	v_add_f64_e32 v[46:47], v[119:120], v[48:49]
	;; [unrolled: 1-line block ×3, first 2 shown]
	v_fma_f64 v[44:45], v[107:108], s[6:7], v[52:53]
	v_fma_f64 v[52:53], v[107:108], s[4:5], v[52:53]
	;; [unrolled: 1-line block ×6, first 2 shown]
	s_wait_alu 0xfffe
	v_fma_f64 v[67:68], v[71:72], s[10:11], v[67:68]
	v_add_f64_e32 v[71:72], v[101:102], v[103:104]
	v_fma_f64 v[91:92], v[93:94], s[14:15], v[105:106]
	v_fma_f64 v[59:60], v[75:76], s[10:11], v[59:60]
	v_add_f64_e64 v[75:76], v[42:43], -v[50:51]
	v_add_f64_e64 v[42:43], v[50:51], -v[42:43]
	v_add_f64_e32 v[50:51], v[115:116], v[50:51]
	v_add_f64_e64 v[95:96], v[18:19], -v[22:23]
	v_add_f64_e64 v[101:102], v[16:17], -v[20:21]
	v_add_f64_e32 v[105:106], v[111:112], v[113:114]
	v_fma_f64 v[111:112], v[54:55], s[4:5], v[83:84]
	v_fma_f64 v[85:86], v[77:78], s[10:11], v[85:86]
	;; [unrolled: 1-line block ×4, first 2 shown]
	v_add_f64_e64 v[97:98], v[22:23], -v[18:19]
	v_add_f64_e64 v[103:104], v[20:21], -v[16:17]
	v_fma_f64 v[69:70], v[93:94], s[10:11], v[69:70]
	v_add_f64_e32 v[26:27], v[26:27], v[34:35]
	v_add_f64_e32 v[20:21], v[46:47], v[20:21]
	;; [unrolled: 1-line block ×3, first 2 shown]
	v_fma_f64 v[32:33], v[109:110], s[14:15], v[44:45]
	v_fma_f64 v[44:45], v[109:110], s[10:11], v[52:53]
	;; [unrolled: 1-line block ×11, first 2 shown]
	v_add_f64_e32 v[22:23], v[50:51], v[22:23]
	v_add_f64_e32 v[75:76], v[75:76], v[95:96]
	;; [unrolled: 1-line block ×3, first 2 shown]
	v_fma_f64 v[46:47], v[117:118], s[10:11], v[111:112]
	v_fma_f64 v[50:51], v[105:106], s[18:19], v[85:86]
	;; [unrolled: 1-line block ×3, first 2 shown]
	v_add_f64_e32 v[42:43], v[42:43], v[97:98]
	v_add_f64_e32 v[40:41], v[40:41], v[103:104]
	v_fma_f64 v[48:49], v[71:72], s[18:19], v[69:70]
	v_add_f64_e32 v[26:27], v[26:27], v[30:31]
	v_add_f64_e32 v[20:21], v[20:21], v[16:17]
	;; [unrolled: 1-line block ×3, first 2 shown]
	v_mul_f64_e32 v[69:70], s[20:21], v[77:78]
	v_mul_f64_e32 v[71:72], s[22:23], v[87:88]
	;; [unrolled: 1-line block ×3, first 2 shown]
	v_fma_f64 v[81:82], v[54:55], s[10:11], v[81:82]
	v_fma_f64 v[36:37], v[54:55], s[14:15], v[36:37]
	;; [unrolled: 1-line block ×3, first 2 shown]
	v_mul_f64_e32 v[83:84], s[10:11], v[89:90]
	v_mul_f64_e32 v[85:86], s[14:15], v[59:60]
	;; [unrolled: 1-line block ×5, first 2 shown]
	s_mov_b32 s7, 0x3fe9e377
	s_mov_b32 s6, s20
	v_add_f64_e32 v[22:23], v[22:23], v[18:19]
	v_fma_f64 v[28:29], v[75:76], s[18:19], v[32:33]
	v_fma_f64 v[75:76], v[75:76], s[18:19], v[44:45]
	;; [unrolled: 1-line block ×5, first 2 shown]
	v_add_f64_e64 v[16:17], v[20:21], -v[24:25]
	v_add_f64_e32 v[20:21], v[20:21], v[24:25]
	v_fma_f64 v[38:39], v[48:49], s[10:11], v[69:70]
	v_fma_f64 v[42:43], v[50:51], s[4:5], v[71:72]
	;; [unrolled: 1-line block ×6, first 2 shown]
	s_wait_alu 0xfffe
	v_fma_f64 v[54:55], v[59:60], s[6:7], v[83:84]
	v_fma_f64 v[59:60], v[89:90], s[6:7], v[85:86]
	;; [unrolled: 1-line block ×5, first 2 shown]
	v_add_f64_e64 v[18:19], v[22:23], -v[26:27]
	v_add_f64_e32 v[22:23], v[22:23], v[26:27]
	v_add_f64_e64 v[26:27], v[28:29], -v[38:39]
	v_add_f64_e64 v[30:31], v[32:33], -v[42:43]
	;; [unrolled: 1-line block ×3, first 2 shown]
	v_add_f64_e32 v[46:47], v[91:92], v[44:45]
	v_add_f64_e32 v[42:43], v[32:33], v[42:43]
	;; [unrolled: 1-line block ×8, first 2 shown]
	v_add_f64_e64 v[54:55], v[75:76], -v[54:55]
	v_add_f64_e64 v[52:53], v[73:74], -v[59:60]
	;; [unrolled: 1-line block ×5, first 2 shown]
	v_and_b32_e32 v59, 0xffff, v66
	s_delay_alu instid0(VALU_DEP_1)
	v_lshl_add_u32 v59, v59, 4, v65
	ds_store_b128 v59, v[20:23]
	ds_store_b128 v59, v[48:51] offset:16
	ds_store_b128 v59, v[44:47] offset:32
	ds_store_b128 v59, v[40:43] offset:48
	ds_store_b128 v59, v[36:39] offset:64
	ds_store_b128 v59, v[16:19] offset:80
	ds_store_b128 v59, v[52:55] offset:96
	ds_store_b128 v59, v[32:35] offset:112
	ds_store_b128 v59, v[28:31] offset:128
	ds_store_b128 v59, v[24:27] offset:144
.LBB0_13:
	s_wait_alu 0xfffe
	s_or_b32 exec_lo, exec_lo, s16
	global_wb scope:SCOPE_SE
	s_wait_dscnt 0x0
	s_barrier_signal -1
	s_barrier_wait -1
	global_inv scope:SCOPE_SE
	ds_load_b128 v[16:19], v58 offset:160
	ds_load_b128 v[20:23], v58 offset:320
	;; [unrolled: 1-line block ×4, first 2 shown]
	s_mov_b32 s4, 0x134454ff
	s_mov_b32 s5, 0xbfee6f0e
	;; [unrolled: 1-line block ×3, first 2 shown]
	s_wait_alu 0xfffe
	s_mov_b32 s6, s4
	s_wait_dscnt 0x3
	v_mul_f64_e32 v[32:33], v[14:15], v[18:19]
	s_wait_dscnt 0x2
	v_mul_f64_e32 v[34:35], v[10:11], v[22:23]
	;; [unrolled: 2-line block ×3, first 2 shown]
	v_mul_f64_e32 v[10:11], v[10:11], v[20:21]
	v_mul_f64_e32 v[6:7], v[6:7], v[24:25]
	;; [unrolled: 1-line block ×3, first 2 shown]
	s_wait_dscnt 0x0
	v_mul_f64_e32 v[38:39], v[2:3], v[30:31]
	v_mul_f64_e32 v[2:3], v[2:3], v[28:29]
	v_fma_f64 v[16:17], v[12:13], v[16:17], v[32:33]
	v_fma_f64 v[20:21], v[8:9], v[20:21], v[34:35]
	;; [unrolled: 1-line block ×3, first 2 shown]
	v_fma_f64 v[8:9], v[8:9], v[22:23], -v[10:11]
	v_fma_f64 v[4:5], v[4:5], v[26:27], -v[6:7]
	v_fma_f64 v[12:13], v[12:13], v[18:19], -v[14:15]
	v_fma_f64 v[14:15], v[0:1], v[28:29], v[38:39]
	v_fma_f64 v[6:7], v[0:1], v[30:31], -v[2:3]
	ds_load_b128 v[0:3], v58
	s_wait_dscnt 0x0
	v_add_f64_e32 v[28:29], v[0:1], v[16:17]
	v_add_f64_e32 v[10:11], v[20:21], v[24:25]
	;; [unrolled: 1-line block ×6, first 2 shown]
	v_add_f64_e64 v[30:31], v[12:13], -v[6:7]
	v_add_f64_e64 v[36:37], v[16:17], -v[14:15]
	v_add_f64_e64 v[32:33], v[8:9], -v[4:5]
	v_add_f64_e64 v[40:41], v[24:25], -v[14:15]
	v_add_f64_e64 v[42:43], v[12:13], -v[8:9]
	v_add_f64_e64 v[12:13], v[8:9], -v[12:13]
	v_add_f64_e64 v[46:47], v[4:5], -v[6:7]
	v_add_f64_e64 v[38:39], v[14:15], -v[24:25]
	v_add_f64_e64 v[44:45], v[6:7], -v[4:5]
	v_fma_f64 v[10:11], v[10:11], -0.5, v[0:1]
	v_fma_f64 v[22:23], v[22:23], -0.5, v[2:3]
	v_add_f64_e32 v[8:9], v[34:35], v[8:9]
	v_fma_f64 v[0:1], v[18:19], -0.5, v[0:1]
	v_add_f64_e64 v[18:19], v[20:21], -v[24:25]
	v_fma_f64 v[2:3], v[26:27], -0.5, v[2:3]
	v_add_f64_e64 v[26:27], v[16:17], -v[20:21]
	v_add_f64_e64 v[16:17], v[20:21], -v[16:17]
	v_add_f64_e32 v[20:21], v[28:29], v[20:21]
	v_fma_f64 v[28:29], v[30:31], s[4:5], v[10:11]
	s_wait_alu 0xfffe
	v_fma_f64 v[10:11], v[30:31], s[6:7], v[10:11]
	v_fma_f64 v[48:49], v[36:37], s[6:7], v[22:23]
	;; [unrolled: 1-line block ×7, first 2 shown]
	s_mov_b32 s4, 0x4755a5e
	s_mov_b32 s5, 0xbfe2cf23
	;; [unrolled: 1-line block ×3, first 2 shown]
	s_wait_alu 0xfffe
	s_mov_b32 s6, s4
	v_add_f64_e32 v[16:17], v[16:17], v[40:41]
	v_add_f64_e32 v[40:41], v[12:13], v[46:47]
	;; [unrolled: 1-line block ×6, first 2 shown]
	v_fma_f64 v[8:9], v[32:33], s[4:5], v[28:29]
	s_wait_alu 0xfffe
	v_fma_f64 v[10:11], v[32:33], s[6:7], v[10:11]
	v_fma_f64 v[28:29], v[18:19], s[6:7], v[48:49]
	;; [unrolled: 1-line block ×7, first 2 shown]
	s_mov_b32 s4, 0x372fe950
	s_mov_b32 s5, 0x3fd3c6ef
	v_add_f64_e32 v[0:1], v[12:13], v[14:15]
	v_add_f64_e32 v[2:3], v[4:5], v[6:7]
	s_wait_alu 0xfffe
	v_fma_f64 v[4:5], v[26:27], s[4:5], v[8:9]
	v_fma_f64 v[8:9], v[26:27], s[4:5], v[10:11]
	;; [unrolled: 1-line block ×8, first 2 shown]
	ds_store_b128 v57, v[0:3]
	ds_store_b128 v57, v[4:7] offset:160
	ds_store_b128 v57, v[12:15] offset:320
	;; [unrolled: 1-line block ×4, first 2 shown]
	global_wb scope:SCOPE_SE
	s_wait_dscnt 0x0
	s_barrier_signal -1
	s_barrier_wait -1
	global_inv scope:SCOPE_SE
	s_and_b32 exec_lo, exec_lo, vcc_lo
	s_cbranch_execz .LBB0_15
; %bb.14:
	s_clause 0x9
	global_load_b128 v[0:3], v64, s[12:13]
	global_load_b128 v[4:7], v64, s[12:13] offset:80
	global_load_b128 v[8:11], v64, s[12:13] offset:160
	;; [unrolled: 1-line block ×9, first 2 shown]
	v_mad_co_u64_u32 v[82:83], null, s2, v56, 0
	v_mad_co_u64_u32 v[84:85], null, s0, v62, 0
	v_lshl_add_u32 v60, v63, 4, v64
	ds_load_b128 v[40:43], v57
	ds_load_b128 v[44:47], v60 offset:80
	v_dual_mov_b32 v57, v83 :: v_dual_mov_b32 v58, v85
	ds_load_b128 v[48:51], v60 offset:160
	ds_load_b128 v[52:55], v60 offset:240
	s_mov_b32 s4, 0x47ae147b
	s_mov_b32 s5, 0x3f947ae1
	v_mad_co_u64_u32 v[74:75], null, s3, v56, v[57:58]
	v_mad_co_u64_u32 v[75:76], null, s1, v62, v[58:59]
	ds_load_b128 v[56:59], v60 offset:320
	ds_load_b128 v[62:65], v60 offset:400
	;; [unrolled: 1-line block ×4, first 2 shown]
	s_mul_u64 s[2:3], s[0:1], 0x50
	v_mov_b32_e32 v85, v75
	s_delay_alu instid0(VALU_DEP_1)
	v_lshlrev_b64_e32 v[84:85], 4, v[84:85]
	s_wait_loadcnt_dscnt 0x907
	v_mul_f64_e32 v[86:87], v[42:43], v[2:3]
	v_mul_f64_e32 v[2:3], v[40:41], v[2:3]
	s_wait_loadcnt_dscnt 0x806
	v_mul_f64_e32 v[88:89], v[46:47], v[6:7]
	v_mul_f64_e32 v[6:7], v[44:45], v[6:7]
	s_wait_loadcnt_dscnt 0x705
	v_mul_f64_e32 v[90:91], v[50:51], v[10:11]
	s_wait_loadcnt_dscnt 0x402
	v_mul_f64_e32 v[96:97], v[64:65], v[22:23]
	v_mul_f64_e32 v[22:23], v[62:63], v[22:23]
	;; [unrolled: 1-line block ×7, first 2 shown]
	s_wait_loadcnt_dscnt 0x301
	v_mul_f64_e32 v[98:99], v[68:69], v[26:27]
	v_mul_f64_e32 v[26:27], v[66:67], v[26:27]
	s_wait_loadcnt_dscnt 0x200
	v_mul_f64_e32 v[100:101], v[72:73], v[30:31]
	v_mul_f64_e32 v[30:31], v[70:71], v[30:31]
	v_fma_f64 v[40:41], v[40:41], v[0:1], v[86:87]
	v_fma_f64 v[2:3], v[0:1], v[42:43], -v[2:3]
	v_fma_f64 v[42:43], v[44:45], v[4:5], v[88:89]
	v_fma_f64 v[6:7], v[4:5], v[46:47], -v[6:7]
	;; [unrolled: 2-line block ×3, first 2 shown]
	v_mad_co_u64_u32 v[64:65], null, s0, v61, 0
	v_mov_b32_e32 v83, v74
	ds_load_b128 v[74:77], v60 offset:640
	ds_load_b128 v[78:81], v60 offset:720
	v_fma_f64 v[10:11], v[8:9], v[50:51], -v[10:11]
	v_fma_f64 v[46:47], v[52:53], v[12:13], v[92:93]
	v_fma_f64 v[14:15], v[12:13], v[54:55], -v[14:15]
	v_fma_f64 v[48:49], v[56:57], v[16:17], v[94:95]
	v_mov_b32_e32 v60, v65
	v_lshlrev_b64_e32 v[82:83], 4, v[82:83]
	v_fma_f64 v[18:19], v[16:17], v[58:59], -v[18:19]
	v_fma_f64 v[50:51], v[62:63], v[20:21], v[96:97]
	v_fma_f64 v[52:53], v[66:67], v[24:25], v[98:99]
	v_fma_f64 v[26:27], v[24:25], v[68:69], -v[26:27]
	v_fma_f64 v[54:55], v[70:71], v[28:29], v[100:101]
	v_fma_f64 v[30:31], v[28:29], v[72:73], -v[30:31]
	v_add_co_u32 v108, vcc_lo, s8, v82
	v_add_co_ci_u32_e32 v109, vcc_lo, s9, v83, vcc_lo
	s_delay_alu instid0(VALU_DEP_2)
	v_add_co_u32 v82, vcc_lo, v108, v84
	s_wait_loadcnt_dscnt 0x101
	v_mul_f64_e32 v[102:103], v[76:77], v[34:35]
	v_mul_f64_e32 v[34:35], v[74:75], v[34:35]
	s_wait_loadcnt_dscnt 0x0
	v_mul_f64_e32 v[104:105], v[80:81], v[38:39]
	v_mul_f64_e32 v[38:39], v[78:79], v[38:39]
	s_wait_alu 0xfffd
	v_add_co_ci_u32_e32 v83, vcc_lo, v109, v85, vcc_lo
	s_wait_alu 0xfffe
	v_add_co_u32 v84, vcc_lo, v82, s2
	v_mul_f64_e32 v[0:1], s[4:5], v[40:41]
	s_wait_alu 0xfffd
	v_add_co_ci_u32_e32 v85, vcc_lo, s3, v83, vcc_lo
	s_delay_alu instid0(VALU_DEP_3) | instskip(SKIP_2) | instid1(VALU_DEP_3)
	v_add_co_u32 v106, vcc_lo, v84, s2
	v_mul_f64_e32 v[2:3], s[4:5], v[2:3]
	s_wait_alu 0xfffd
	v_add_co_ci_u32_e32 v107, vcc_lo, s3, v85, vcc_lo
	s_delay_alu instid0(VALU_DEP_3) | instskip(SKIP_2) | instid1(VALU_DEP_3)
	;; [unrolled: 5-line block ×4, first 2 shown]
	v_add_co_u32 v68, vcc_lo, v66, s2
	v_mul_f64_e32 v[8:9], s[4:5], v[44:45]
	s_wait_alu 0xfffd
	v_add_co_ci_u32_e32 v69, vcc_lo, s3, v67, vcc_lo
	v_mul_f64_e32 v[10:11], s[4:5], v[10:11]
	v_mul_f64_e32 v[12:13], s[4:5], v[46:47]
	;; [unrolled: 1-line block ×5, first 2 shown]
	v_add_co_u32 v70, vcc_lo, v68, s2
	v_fma_f64 v[56:57], v[74:75], v[32:33], v[102:103]
	v_fma_f64 v[34:35], v[32:33], v[76:77], -v[34:35]
	v_fma_f64 v[58:59], v[78:79], v[36:37], v[104:105]
	v_fma_f64 v[38:39], v[36:37], v[80:81], -v[38:39]
	v_mul_f64_e32 v[20:21], s[4:5], v[50:51]
	v_mul_f64_e32 v[22:23], s[4:5], v[22:23]
	;; [unrolled: 1-line block ×4, first 2 shown]
	s_wait_alu 0xfffd
	v_add_co_ci_u32_e32 v71, vcc_lo, s3, v69, vcc_lo
	v_mul_f64_e32 v[28:29], s[4:5], v[54:55]
	v_mul_f64_e32 v[30:31], s[4:5], v[30:31]
	v_add_co_u32 v40, vcc_lo, v70, s2
	s_wait_alu 0xfffd
	v_add_co_ci_u32_e32 v41, vcc_lo, s3, v71, vcc_lo
	v_mad_co_u64_u32 v[42:43], null, s1, v61, v[60:61]
	s_delay_alu instid0(VALU_DEP_2) | instskip(NEXT) | instid1(VALU_DEP_1)
	v_mad_co_u64_u32 v[43:44], null, 0xa0, s0, v[40:41]
	v_dual_mov_b32 v65, v42 :: v_dual_mov_b32 v42, v44
	s_delay_alu instid0(VALU_DEP_1) | instskip(NEXT) | instid1(VALU_DEP_2)
	v_lshlrev_b64_e32 v[44:45], 4, v[64:65]
	v_mad_co_u64_u32 v[46:47], null, 0xa0, s1, v[42:43]
	s_delay_alu instid0(VALU_DEP_2) | instskip(SKIP_1) | instid1(VALU_DEP_3)
	v_add_co_u32 v47, vcc_lo, v108, v44
	s_wait_alu 0xfffd
	v_add_co_ci_u32_e32 v48, vcc_lo, v109, v45, vcc_lo
	v_mul_f64_e32 v[32:33], s[4:5], v[56:57]
	s_delay_alu instid0(VALU_DEP_4)
	v_mov_b32_e32 v44, v46
	v_mul_f64_e32 v[34:35], s[4:5], v[34:35]
	v_mul_f64_e32 v[36:37], s[4:5], v[58:59]
	v_mul_f64_e32 v[38:39], s[4:5], v[38:39]
	s_clause 0x4
	global_store_b128 v[82:83], v[0:3], off
	global_store_b128 v[84:85], v[4:7], off
	;; [unrolled: 1-line block ×10, first 2 shown]
.LBB0_15:
	s_nop 0
	s_sendmsg sendmsg(MSG_DEALLOC_VGPRS)
	s_endpgm
	.section	.rodata,"a",@progbits
	.p2align	6, 0x0
	.amdhsa_kernel bluestein_single_fwd_len50_dim1_dp_op_CI_CI
		.amdhsa_group_segment_fixed_size 20000
		.amdhsa_private_segment_fixed_size 0
		.amdhsa_kernarg_size 104
		.amdhsa_user_sgpr_count 2
		.amdhsa_user_sgpr_dispatch_ptr 0
		.amdhsa_user_sgpr_queue_ptr 0
		.amdhsa_user_sgpr_kernarg_segment_ptr 1
		.amdhsa_user_sgpr_dispatch_id 0
		.amdhsa_user_sgpr_private_segment_size 0
		.amdhsa_wavefront_size32 1
		.amdhsa_uses_dynamic_stack 0
		.amdhsa_enable_private_segment 0
		.amdhsa_system_sgpr_workgroup_id_x 1
		.amdhsa_system_sgpr_workgroup_id_y 0
		.amdhsa_system_sgpr_workgroup_id_z 0
		.amdhsa_system_sgpr_workgroup_info 0
		.amdhsa_system_vgpr_workitem_id 0
		.amdhsa_next_free_vgpr 167
		.amdhsa_next_free_sgpr 24
		.amdhsa_reserve_vcc 1
		.amdhsa_float_round_mode_32 0
		.amdhsa_float_round_mode_16_64 0
		.amdhsa_float_denorm_mode_32 3
		.amdhsa_float_denorm_mode_16_64 3
		.amdhsa_fp16_overflow 0
		.amdhsa_workgroup_processor_mode 1
		.amdhsa_memory_ordered 1
		.amdhsa_forward_progress 0
		.amdhsa_round_robin_scheduling 0
		.amdhsa_exception_fp_ieee_invalid_op 0
		.amdhsa_exception_fp_denorm_src 0
		.amdhsa_exception_fp_ieee_div_zero 0
		.amdhsa_exception_fp_ieee_overflow 0
		.amdhsa_exception_fp_ieee_underflow 0
		.amdhsa_exception_fp_ieee_inexact 0
		.amdhsa_exception_int_div_zero 0
	.end_amdhsa_kernel
	.text
.Lfunc_end0:
	.size	bluestein_single_fwd_len50_dim1_dp_op_CI_CI, .Lfunc_end0-bluestein_single_fwd_len50_dim1_dp_op_CI_CI
                                        ; -- End function
	.section	.AMDGPU.csdata,"",@progbits
; Kernel info:
; codeLenInByte = 7104
; NumSgprs: 26
; NumVgprs: 167
; ScratchSize: 0
; MemoryBound: 0
; FloatMode: 240
; IeeeMode: 1
; LDSByteSize: 20000 bytes/workgroup (compile time only)
; SGPRBlocks: 3
; VGPRBlocks: 20
; NumSGPRsForWavesPerEU: 26
; NumVGPRsForWavesPerEU: 167
; Occupancy: 9
; WaveLimiterHint : 1
; COMPUTE_PGM_RSRC2:SCRATCH_EN: 0
; COMPUTE_PGM_RSRC2:USER_SGPR: 2
; COMPUTE_PGM_RSRC2:TRAP_HANDLER: 0
; COMPUTE_PGM_RSRC2:TGID_X_EN: 1
; COMPUTE_PGM_RSRC2:TGID_Y_EN: 0
; COMPUTE_PGM_RSRC2:TGID_Z_EN: 0
; COMPUTE_PGM_RSRC2:TIDIG_COMP_CNT: 0
	.text
	.p2alignl 7, 3214868480
	.fill 96, 4, 3214868480
	.type	__hip_cuid_4cc3d202bc911192,@object ; @__hip_cuid_4cc3d202bc911192
	.section	.bss,"aw",@nobits
	.globl	__hip_cuid_4cc3d202bc911192
__hip_cuid_4cc3d202bc911192:
	.byte	0                               ; 0x0
	.size	__hip_cuid_4cc3d202bc911192, 1

	.ident	"AMD clang version 19.0.0git (https://github.com/RadeonOpenCompute/llvm-project roc-6.4.0 25133 c7fe45cf4b819c5991fe208aaa96edf142730f1d)"
	.section	".note.GNU-stack","",@progbits
	.addrsig
	.addrsig_sym __hip_cuid_4cc3d202bc911192
	.amdgpu_metadata
---
amdhsa.kernels:
  - .args:
      - .actual_access:  read_only
        .address_space:  global
        .offset:         0
        .size:           8
        .value_kind:     global_buffer
      - .actual_access:  read_only
        .address_space:  global
        .offset:         8
        .size:           8
        .value_kind:     global_buffer
      - .actual_access:  read_only
        .address_space:  global
        .offset:         16
        .size:           8
        .value_kind:     global_buffer
      - .actual_access:  read_only
        .address_space:  global
        .offset:         24
        .size:           8
        .value_kind:     global_buffer
      - .actual_access:  read_only
        .address_space:  global
        .offset:         32
        .size:           8
        .value_kind:     global_buffer
      - .offset:         40
        .size:           8
        .value_kind:     by_value
      - .address_space:  global
        .offset:         48
        .size:           8
        .value_kind:     global_buffer
      - .address_space:  global
        .offset:         56
        .size:           8
        .value_kind:     global_buffer
      - .address_space:  global
        .offset:         64
        .size:           8
        .value_kind:     global_buffer
      - .address_space:  global
        .offset:         72
        .size:           8
        .value_kind:     global_buffer
      - .offset:         80
        .size:           4
        .value_kind:     by_value
      - .address_space:  global
        .offset:         88
        .size:           8
        .value_kind:     global_buffer
      - .address_space:  global
        .offset:         96
        .size:           8
        .value_kind:     global_buffer
    .group_segment_fixed_size: 20000
    .kernarg_segment_align: 8
    .kernarg_segment_size: 104
    .language:       OpenCL C
    .language_version:
      - 2
      - 0
    .max_flat_workgroup_size: 250
    .name:           bluestein_single_fwd_len50_dim1_dp_op_CI_CI
    .private_segment_fixed_size: 0
    .sgpr_count:     26
    .sgpr_spill_count: 0
    .symbol:         bluestein_single_fwd_len50_dim1_dp_op_CI_CI.kd
    .uniform_work_group_size: 1
    .uses_dynamic_stack: false
    .vgpr_count:     167
    .vgpr_spill_count: 0
    .wavefront_size: 32
    .workgroup_processor_mode: 1
amdhsa.target:   amdgcn-amd-amdhsa--gfx1201
amdhsa.version:
  - 1
  - 2
...

	.end_amdgpu_metadata
